;; amdgpu-corpus repo=ROCm/rocFFT kind=compiled arch=gfx906 opt=O3
	.text
	.amdgcn_target "amdgcn-amd-amdhsa--gfx906"
	.amdhsa_code_object_version 6
	.protected	bluestein_single_fwd_len208_dim1_sp_op_CI_CI ; -- Begin function bluestein_single_fwd_len208_dim1_sp_op_CI_CI
	.globl	bluestein_single_fwd_len208_dim1_sp_op_CI_CI
	.p2align	8
	.type	bluestein_single_fwd_len208_dim1_sp_op_CI_CI,@function
bluestein_single_fwd_len208_dim1_sp_op_CI_CI: ; @bluestein_single_fwd_len208_dim1_sp_op_CI_CI
; %bb.0:
	s_load_dwordx4 s[8:11], s[4:5], 0x28
	v_lshrrev_b32_e32 v1, 4, v0
	v_lshl_or_b32 v50, s6, 2, v1
	v_mov_b32_e32 v51, 0
	s_waitcnt lgkmcnt(0)
	v_cmp_gt_u64_e32 vcc, s[8:9], v[50:51]
	s_and_saveexec_b64 s[0:1], vcc
	s_cbranch_execz .LBB0_10
; %bb.1:
	s_load_dwordx4 s[0:3], s[4:5], 0x18
	s_load_dwordx4 s[12:15], s[4:5], 0x0
	v_and_b32_e32 v92, 15, v0
	v_lshlrev_b32_e32 v94, 3, v92
	s_mov_b32 s6, 0x3f62ad3f
	s_waitcnt lgkmcnt(0)
	s_load_dwordx4 s[16:19], s[0:1], 0x0
	s_mov_b32 s7, 0xbeb58ec6
                                        ; implicit-def: $vgpr89
	s_waitcnt lgkmcnt(0)
	v_mad_u64_u32 v[2:3], s[0:1], s18, v50, 0
	v_mad_u64_u32 v[4:5], s[0:1], s16, v92, 0
	v_mov_b32_e32 v0, v3
	v_mov_b32_e32 v3, v5
	v_mad_u64_u32 v[5:6], s[0:1], s19, v50, v[0:1]
	v_mad_u64_u32 v[6:7], s[0:1], s17, v92, v[3:4]
	v_mov_b32_e32 v3, v5
	v_lshlrev_b64 v[2:3], 3, v[2:3]
	v_mov_b32_e32 v5, v6
	v_mov_b32_e32 v0, s11
	v_lshlrev_b64 v[4:5], 3, v[4:5]
	v_add_co_u32_e32 v2, vcc, s10, v2
	v_addc_co_u32_e32 v0, vcc, v0, v3, vcc
	v_add_co_u32_e32 v2, vcc, v2, v4
	v_addc_co_u32_e32 v3, vcc, v0, v5, vcc
	s_lshl_b64 s[0:1], s[16:17], 7
	global_load_dwordx2 v[4:5], v[2:3], off
	v_mov_b32_e32 v0, s1
	v_add_co_u32_e32 v2, vcc, s0, v2
	v_addc_co_u32_e32 v3, vcc, v3, v0, vcc
	v_add_co_u32_e32 v6, vcc, s0, v2
	v_addc_co_u32_e32 v7, vcc, v3, v0, vcc
	;; [unrolled: 2-line block ×4, first 2 shown]
	global_load_dwordx2 v[61:62], v94, s[12:13]
	global_load_dwordx2 v[59:60], v94, s[12:13] offset:128
	global_load_dwordx2 v[57:58], v94, s[12:13] offset:256
	;; [unrolled: 1-line block ×3, first 2 shown]
	global_load_dwordx2 v[12:13], v[2:3], off
	global_load_dwordx2 v[14:15], v[6:7], off
	;; [unrolled: 1-line block ×4, first 2 shown]
	global_load_dwordx2 v[51:52], v94, s[12:13] offset:512
	v_add_co_u32_e32 v2, vcc, s0, v10
	v_addc_co_u32_e32 v3, vcc, v11, v0, vcc
	global_load_dwordx2 v[6:7], v[2:3], off
	v_add_co_u32_e32 v2, vcc, s0, v2
	v_addc_co_u32_e32 v3, vcc, v3, v0, vcc
	global_load_dwordx2 v[8:9], v[2:3], off
	;; [unrolled: 3-line block ×3, first 2 shown]
	global_load_dwordx2 v[55:56], v94, s[12:13] offset:640
	global_load_dwordx2 v[48:49], v94, s[12:13] offset:768
	;; [unrolled: 1-line block ×3, first 2 shown]
	v_add_co_u32_e32 v2, vcc, s0, v2
	v_addc_co_u32_e32 v3, vcc, v3, v0, vcc
	global_load_dwordx2 v[20:21], v[2:3], off
	global_load_dwordx2 v[44:45], v94, s[12:13] offset:1024
	v_add_co_u32_e32 v2, vcc, s0, v2
	v_addc_co_u32_e32 v3, vcc, v3, v0, vcc
	global_load_dwordx2 v[22:23], v[2:3], off
	v_add_co_u32_e32 v2, vcc, s0, v2
	v_addc_co_u32_e32 v3, vcc, v3, v0, vcc
	global_load_dwordx2 v[24:25], v[2:3], off
	global_load_dwordx2 v[42:43], v94, s[12:13] offset:1152
	global_load_dwordx2 v[40:41], v94, s[12:13] offset:1280
	v_add_co_u32_e32 v2, vcc, s0, v2
	v_addc_co_u32_e32 v3, vcc, v3, v0, vcc
	global_load_dwordx2 v[26:27], v[2:3], off
	global_load_dwordx2 v[38:39], v94, s[12:13] offset:1408
	v_add_co_u32_e32 v2, vcc, s0, v2
	v_addc_co_u32_e32 v3, vcc, v3, v0, vcc
	global_load_dwordx2 v[28:29], v[2:3], off
	global_load_dwordx2 v[36:37], v94, s[12:13] offset:1536
	v_mul_u32_u24_e32 v0, 0xd0, v1
	v_or_b32_e32 v2, v0, v92
	v_lshlrev_b32_e32 v93, 3, v2
	v_lshl_or_b32 v91, v0, 3, v94
	s_load_dwordx4 s[8:11], s[2:3], 0x0
	s_mov_b32 s1, 0x3f116cb1
	s_mov_b32 s0, 0x3df6dbef
	;; [unrolled: 1-line block ×4, first 2 shown]
	s_load_dwordx2 s[2:3], s[4:5], 0x38
	s_waitcnt vmcnt(24)
	v_mul_f32_e32 v1, v5, v62
	v_mul_f32_e32 v2, v4, v62
	v_fmac_f32_e32 v1, v4, v61
	v_fma_f32 v2, v5, v61, -v2
	ds_write_b64 v93, v[1:2]
	s_waitcnt vmcnt(20)
	v_mul_f32_e32 v1, v13, v60
	v_mul_f32_e32 v2, v12, v60
	s_waitcnt vmcnt(19)
	v_mul_f32_e32 v3, v15, v58
	v_mul_f32_e32 v4, v14, v58
	v_fmac_f32_e32 v1, v12, v59
	v_fma_f32 v2, v13, v59, -v2
	v_fmac_f32_e32 v3, v14, v57
	v_fma_f32 v4, v15, v57, -v4
	ds_write2_b64 v91, v[1:2], v[3:4] offset0:16 offset1:32
	s_waitcnt vmcnt(18)
	v_mul_f32_e32 v1, v17, v54
	v_mul_f32_e32 v2, v16, v54
	s_waitcnt vmcnt(16)
	v_mul_f32_e32 v3, v19, v52
	v_mul_f32_e32 v4, v18, v52
	v_fmac_f32_e32 v1, v16, v53
	v_fma_f32 v2, v17, v53, -v2
	v_fmac_f32_e32 v3, v18, v51
	v_fma_f32 v4, v19, v51, -v4
	ds_write2_b64 v91, v[1:2], v[3:4] offset0:48 offset1:64
	;; [unrolled: 11-line block ×6, first 2 shown]
	s_waitcnt lgkmcnt(0)
	; wave barrier
	s_waitcnt lgkmcnt(0)
	ds_read_b64 v[25:26], v93
	ds_read2_b64 v[1:4], v91 offset0:16 offset1:32
	ds_read2_b64 v[5:8], v91 offset0:48 offset1:64
	ds_read2_b64 v[9:12], v91 offset0:80 offset1:96
	ds_read2_b64 v[13:16], v91 offset0:112 offset1:128
	ds_read2_b64 v[17:20], v91 offset0:144 offset1:160
	ds_read2_b64 v[21:24], v91 offset0:176 offset1:192
	s_waitcnt lgkmcnt(5)
	v_add_f32_e32 v27, v25, v1
	v_add_f32_e32 v28, v26, v2
	v_add_f32_e32 v27, v27, v3
	v_add_f32_e32 v28, v28, v4
	s_waitcnt lgkmcnt(4)
	v_add_f32_e32 v27, v27, v5
	v_add_f32_e32 v28, v28, v6
	v_add_f32_e32 v27, v27, v7
	v_add_f32_e32 v28, v28, v8
	;; [unrolled: 5-line block ×6, first 2 shown]
	v_add_f32_e32 v27, v23, v1
	v_add_f32_e32 v28, v24, v2
	v_sub_f32_e32 v1, v1, v23
	v_sub_f32_e32 v2, v2, v24
	v_mul_f32_e32 v23, 0xbeedf032, v2
	v_mul_f32_e32 v29, 0xbeedf032, v1
	;; [unrolled: 1-line block ×5, first 2 shown]
	v_add_f32_e32 v68, v21, v3
	v_sub_f32_e32 v3, v3, v21
	v_mul_f32_e32 v21, 0xbf6f5d39, v2
	v_mul_f32_e32 v72, 0xbf29c268, v2
	v_mul_f32_e32 v2, 0xbe750f2a, v2
	v_fma_f32 v24, v27, s6, -v23
	v_mov_b32_e32 v30, v29
	v_fmac_f32_e32 v23, 0x3f62ad3f, v27
	v_fma_f32 v32, v27, s1, -v31
	v_mov_b32_e32 v34, v33
	v_fmac_f32_e32 v31, 0x3f116cb1, v27
	v_fma_f32 v63, v27, s0, -v35
	v_mul_f32_e32 v64, 0xbf7e222b, v1
	v_fmac_f32_e32 v35, 0x3df6dbef, v27
	v_add_f32_e32 v69, v22, v4
	v_sub_f32_e32 v4, v4, v22
	v_fma_f32 v22, v27, s7, -v21
	v_mul_f32_e32 v70, 0xbf6f5d39, v1
	v_fmac_f32_e32 v21, 0xbeb58ec6, v27
	v_fma_f32 v73, v27, s16, -v72
	v_fmac_f32_e32 v72, 0xbf3f9e67, v27
	v_fma_f32 v74, v27, s17, -v2
	v_fmac_f32_e32 v2, 0xbf788fa5, v27
	v_mul_f32_e32 v27, 0xbf29c268, v1
	v_mul_f32_e32 v1, 0xbe750f2a, v1
	v_fmac_f32_e32 v30, 0x3f62ad3f, v28
	v_fmac_f32_e32 v34, 0x3f116cb1, v28
	v_mov_b32_e32 v67, v64
	v_mov_b32_e32 v71, v70
	;; [unrolled: 1-line block ×4, first 2 shown]
	v_fma_f32 v29, v28, s6, -v29
	v_fma_f32 v33, v28, s1, -v33
	v_fmac_f32_e32 v67, 0x3df6dbef, v28
	v_fma_f32 v64, v28, s0, -v64
	v_fmac_f32_e32 v71, 0xbeb58ec6, v28
	;; [unrolled: 2-line block ×4, first 2 shown]
	v_fma_f32 v1, v28, s17, -v1
	v_add_f32_e32 v24, v25, v24
	v_add_f32_e32 v28, v26, v30
	;; [unrolled: 1-line block ×14, first 2 shown]
	v_mov_b32_e32 v25, s13
	v_add_co_u32_e32 v34, vcc, s12, v94
	v_addc_co_u32_e32 v35, vcc, 0, v25, vcc
	v_mul_f32_e32 v25, 0xbf52af12, v4
	v_add_f32_e32 v29, v26, v29
	v_add_f32_e32 v33, v26, v33
	;; [unrolled: 1-line block ×10, first 2 shown]
	v_fma_f32 v26, v68, s1, -v25
	v_add_f32_e32 v24, v26, v24
	v_mul_f32_e32 v26, 0xbf52af12, v3
	v_fmac_f32_e32 v25, 0x3f116cb1, v68
	v_mov_b32_e32 v78, v26
	v_add_f32_e32 v23, v25, v23
	v_fma_f32 v25, v69, s1, -v26
	v_mul_f32_e32 v26, 0xbf6f5d39, v4
	v_add_f32_e32 v25, v25, v29
	v_fma_f32 v29, v68, s7, -v26
	v_fmac_f32_e32 v78, 0x3f116cb1, v69
	v_add_f32_e32 v29, v29, v30
	v_mul_f32_e32 v30, 0xbf6f5d39, v3
	v_fmac_f32_e32 v26, 0xbeb58ec6, v68
	v_add_f32_e32 v28, v78, v28
	v_mov_b32_e32 v78, v30
	v_add_f32_e32 v26, v26, v31
	v_fma_f32 v30, v69, s7, -v30
	v_mul_f32_e32 v31, 0xbe750f2a, v4
	v_add_f32_e32 v30, v30, v33
	v_fma_f32 v33, v68, s17, -v31
	v_fmac_f32_e32 v78, 0xbeb58ec6, v69
	v_add_f32_e32 v33, v33, v63
	v_mul_f32_e32 v63, 0xbe750f2a, v3
	v_add_f32_e32 v32, v78, v32
	v_mov_b32_e32 v78, v63
	v_fma_f32 v63, v69, s17, -v63
	v_fmac_f32_e32 v31, 0xbf788fa5, v68
	v_add_f32_e32 v63, v63, v64
	v_mul_f32_e32 v64, 0x3f29c268, v4
	v_add_f32_e32 v31, v31, v77
	v_fma_f32 v77, v68, s16, -v64
	v_add_f32_e32 v22, v77, v22
	v_mul_f32_e32 v77, 0x3f29c268, v3
	v_fmac_f32_e32 v64, 0xbf3f9e67, v68
	v_add_f32_e32 v21, v64, v21
	v_fma_f32 v64, v69, s16, -v77
	v_fmac_f32_e32 v78, 0xbf788fa5, v69
	v_add_f32_e32 v64, v64, v70
	v_mul_f32_e32 v70, 0x3f7e222b, v4
	v_add_f32_e32 v67, v78, v67
	v_mov_b32_e32 v78, v77
	v_fma_f32 v77, v68, s0, -v70
	v_add_f32_e32 v73, v77, v73
	v_mul_f32_e32 v77, 0x3f7e222b, v3
	v_fmac_f32_e32 v70, 0x3df6dbef, v68
	v_add_f32_e32 v70, v70, v72
	v_fma_f32 v72, v69, s0, -v77
	v_mul_f32_e32 v4, 0x3eedf032, v4
	v_add_f32_e32 v27, v72, v27
	v_fma_f32 v72, v68, s6, -v4
	v_mul_f32_e32 v3, 0x3eedf032, v3
	v_add_f32_e32 v72, v72, v74
	v_mov_b32_e32 v74, v3
	v_fma_f32 v3, v69, s6, -v3
	v_fmac_f32_e32 v4, 0x3f62ad3f, v68
	v_add_f32_e32 v1, v3, v1
	v_add_f32_e32 v3, v19, v5
	v_sub_f32_e32 v5, v5, v19
	v_add_f32_e32 v2, v4, v2
	v_sub_f32_e32 v4, v6, v20
	v_add_f32_e32 v6, v20, v6
	v_mul_f32_e32 v19, 0xbf7e222b, v5
	v_mov_b32_e32 v20, v19
	v_fma_f32 v19, v6, s0, -v19
	v_fmac_f32_e32 v78, 0xbf3f9e67, v69
	v_fmac_f32_e32 v20, 0x3df6dbef, v6
	v_add_f32_e32 v19, v19, v25
	v_mul_f32_e32 v25, 0xbe750f2a, v4
	v_add_f32_e32 v71, v78, v71
	v_mov_b32_e32 v78, v77
	v_mul_f32_e32 v68, 0xbf7e222b, v4
	v_add_f32_e32 v20, v20, v28
	v_fma_f32 v28, v3, s17, -v25
	v_fmac_f32_e32 v78, 0x3df6dbef, v69
	v_fmac_f32_e32 v74, 0x3f62ad3f, v69
	v_fma_f32 v69, v3, s0, -v68
	v_fmac_f32_e32 v68, 0x3df6dbef, v3
	v_add_f32_e32 v28, v28, v29
	v_mul_f32_e32 v29, 0xbe750f2a, v5
	v_fmac_f32_e32 v25, 0xbf788fa5, v3
	v_add_f32_e32 v23, v68, v23
	v_mov_b32_e32 v68, v29
	v_add_f32_e32 v25, v25, v26
	v_fma_f32 v26, v6, s17, -v29
	v_mul_f32_e32 v29, 0x3f6f5d39, v4
	v_add_f32_e32 v26, v26, v30
	v_fma_f32 v30, v3, s7, -v29
	v_fmac_f32_e32 v68, 0xbf788fa5, v6
	v_add_f32_e32 v30, v30, v33
	v_mul_f32_e32 v33, 0x3f6f5d39, v5
	v_fmac_f32_e32 v29, 0xbeb58ec6, v3
	v_add_f32_e32 v32, v68, v32
	v_mov_b32_e32 v68, v33
	v_add_f32_e32 v29, v29, v31
	v_fma_f32 v31, v6, s7, -v33
	v_mul_f32_e32 v33, 0x3eedf032, v4
	v_add_f32_e32 v31, v31, v63
	v_fma_f32 v63, v3, s6, -v33
	v_fmac_f32_e32 v68, 0xbeb58ec6, v6
	v_add_f32_e32 v22, v63, v22
	v_mul_f32_e32 v63, 0x3eedf032, v5
	v_add_f32_e32 v67, v68, v67
	v_mov_b32_e32 v68, v63
	v_fmac_f32_e32 v33, 0x3f62ad3f, v3
	v_add_f32_e32 v24, v69, v24
	v_fmac_f32_e32 v68, 0x3f62ad3f, v6
	v_add_f32_e32 v21, v33, v21
	v_fma_f32 v33, v6, s6, -v63
	v_mul_f32_e32 v63, 0xbf52af12, v4
	v_mul_f32_e32 v69, 0xbf52af12, v5
	v_add_f32_e32 v68, v68, v71
	v_add_f32_e32 v33, v33, v64
	v_fma_f32 v64, v3, s1, -v63
	v_mov_b32_e32 v71, v69
	v_fmac_f32_e32 v63, 0x3f116cb1, v3
	v_fma_f32 v69, v6, s1, -v69
	v_mul_f32_e32 v4, 0xbf29c268, v4
	v_mul_f32_e32 v5, 0xbf29c268, v5
	v_add_f32_e32 v63, v63, v70
	v_add_f32_e32 v27, v69, v27
	v_fma_f32 v69, v3, s16, -v4
	v_mov_b32_e32 v70, v5
	v_fmac_f32_e32 v4, 0xbf3f9e67, v3
	v_fma_f32 v3, v6, s16, -v5
	v_sub_f32_e32 v5, v7, v17
	v_fmac_f32_e32 v71, 0x3f116cb1, v6
	v_fmac_f32_e32 v70, 0xbf3f9e67, v6
	v_add_f32_e32 v2, v4, v2
	v_add_f32_e32 v1, v3, v1
	;; [unrolled: 1-line block ×4, first 2 shown]
	v_sub_f32_e32 v6, v8, v18
	v_mul_f32_e32 v17, 0xbf6f5d39, v5
	v_mul_f32_e32 v7, 0xbf6f5d39, v6
	v_mov_b32_e32 v18, v17
	v_fma_f32 v17, v4, s7, -v17
	v_fma_f32 v8, v3, s7, -v7
	v_fmac_f32_e32 v18, 0xbeb58ec6, v4
	v_fmac_f32_e32 v7, 0xbeb58ec6, v3
	v_add_f32_e32 v17, v17, v19
	v_mul_f32_e32 v19, 0x3f29c268, v6
	v_add_f32_e32 v18, v18, v20
	v_add_f32_e32 v7, v7, v23
	v_fma_f32 v20, v3, s16, -v19
	v_mul_f32_e32 v23, 0x3f29c268, v5
	v_fmac_f32_e32 v19, 0xbf3f9e67, v3
	v_add_f32_e32 v8, v8, v24
	v_mov_b32_e32 v24, v23
	v_add_f32_e32 v19, v19, v25
	v_fma_f32 v23, v4, s16, -v23
	v_mul_f32_e32 v25, 0x3eedf032, v6
	v_add_f32_e32 v20, v20, v28
	v_add_f32_e32 v23, v23, v26
	v_fma_f32 v26, v3, s6, -v25
	v_mul_f32_e32 v28, 0x3eedf032, v5
	v_fmac_f32_e32 v25, 0x3f62ad3f, v3
	v_add_f32_e32 v26, v26, v30
	v_mov_b32_e32 v30, v28
	v_add_f32_e32 v25, v25, v29
	v_fma_f32 v28, v4, s6, -v28
	v_mul_f32_e32 v29, 0xbf7e222b, v6
	v_add_f32_e32 v28, v28, v31
	v_fma_f32 v31, v3, s0, -v29
	v_fmac_f32_e32 v24, 0xbf3f9e67, v4
	v_add_f32_e32 v22, v31, v22
	v_mul_f32_e32 v31, 0xbf7e222b, v5
	v_fmac_f32_e32 v29, 0x3df6dbef, v3
	v_add_f32_e32 v24, v24, v32
	v_mov_b32_e32 v32, v31
	v_add_f32_e32 v21, v29, v21
	v_fma_f32 v29, v4, s0, -v31
	v_mul_f32_e32 v31, 0x3e750f2a, v6
	v_add_f32_e32 v64, v64, v73
	v_add_f32_e32 v29, v29, v33
	v_fma_f32 v33, v3, s17, -v31
	v_add_f32_e32 v33, v33, v64
	v_mul_f32_e32 v64, 0x3e750f2a, v5
	v_fmac_f32_e32 v31, 0xbf788fa5, v3
	v_add_f32_e32 v31, v31, v63
	v_fma_f32 v63, v4, s17, -v64
	v_mul_f32_e32 v6, 0x3f52af12, v6
	v_add_f32_e32 v27, v63, v27
	v_fma_f32 v63, v3, s1, -v6
	v_mul_f32_e32 v5, 0x3f52af12, v5
	v_fmac_f32_e32 v6, 0x3f116cb1, v3
	v_fmac_f32_e32 v30, 0x3f62ad3f, v4
	v_add_f32_e32 v2, v6, v2
	v_fma_f32 v3, v4, s1, -v5
	v_sub_f32_e32 v6, v10, v16
	v_add_f32_e32 v30, v30, v67
	v_mov_b32_e32 v67, v64
	v_mov_b32_e32 v64, v5
	v_add_f32_e32 v1, v3, v1
	v_add_f32_e32 v3, v15, v9
	v_sub_f32_e32 v5, v9, v15
	v_mul_f32_e32 v9, 0xbf29c268, v6
	v_fmac_f32_e32 v32, 0x3df6dbef, v4
	v_fmac_f32_e32 v67, 0xbf788fa5, v4
	;; [unrolled: 1-line block ×3, first 2 shown]
	v_add_f32_e32 v4, v16, v10
	v_fma_f32 v10, v3, s16, -v9
	v_add_f32_e32 v8, v10, v8
	v_mul_f32_e32 v10, 0xbf29c268, v5
	v_fmac_f32_e32 v9, 0xbf3f9e67, v3
	v_mov_b32_e32 v15, v10
	v_add_f32_e32 v7, v9, v7
	v_fma_f32 v9, v4, s16, -v10
	v_mul_f32_e32 v10, 0x3f7e222b, v6
	v_fma_f32 v16, v3, s0, -v10
	v_fmac_f32_e32 v10, 0x3df6dbef, v3
	v_add_f32_e32 v10, v10, v19
	v_mul_f32_e32 v19, 0xbf52af12, v6
	v_fmac_f32_e32 v15, 0xbf3f9e67, v4
	v_add_f32_e32 v9, v9, v17
	v_add_f32_e32 v16, v16, v20
	v_mul_f32_e32 v17, 0x3f7e222b, v5
	v_fma_f32 v20, v3, s1, -v19
	v_fmac_f32_e32 v19, 0x3f116cb1, v3
	v_add_f32_e32 v15, v15, v18
	v_mov_b32_e32 v18, v17
	v_fma_f32 v17, v4, s0, -v17
	v_add_f32_e32 v19, v19, v25
	v_mul_f32_e32 v25, 0x3e750f2a, v6
	v_fmac_f32_e32 v18, 0x3df6dbef, v4
	v_add_f32_e32 v17, v17, v23
	v_add_f32_e32 v20, v20, v26
	v_mul_f32_e32 v23, 0xbf52af12, v5
	v_fma_f32 v26, v3, s17, -v25
	v_add_f32_e32 v18, v18, v24
	v_mov_b32_e32 v24, v23
	v_fma_f32 v23, v4, s1, -v23
	v_add_f32_e32 v22, v26, v22
	v_mul_f32_e32 v26, 0x3e750f2a, v5
	v_add_f32_e32 v23, v23, v28
	v_mov_b32_e32 v28, v26
	v_fmac_f32_e32 v25, 0xbf788fa5, v3
	v_add_f32_e32 v32, v32, v68
	v_fmac_f32_e32 v24, 0x3f116cb1, v4
	v_fmac_f32_e32 v28, 0xbf788fa5, v4
	v_add_f32_e32 v21, v25, v21
	v_fma_f32 v25, v4, s17, -v26
	v_mul_f32_e32 v26, 0x3eedf032, v6
	v_add_f32_e32 v24, v24, v30
	v_add_f32_e32 v30, v28, v32
	v_fma_f32 v28, v3, s6, -v26
	v_add_f32_e32 v32, v28, v33
	v_mul_f32_e32 v28, 0x3eedf032, v5
	v_add_f32_e32 v25, v25, v29
	v_mov_b32_e32 v29, v28
	v_fma_f32 v28, v4, s6, -v28
	v_mul_f32_e32 v6, 0xbf6f5d39, v6
	v_add_f32_e32 v69, v69, v72
	v_add_f32_e32 v27, v28, v27
	v_fma_f32 v28, v3, s7, -v6
	v_mul_f32_e32 v5, 0xbf6f5d39, v5
	v_fmac_f32_e32 v6, 0xbeb58ec6, v3
	v_add_f32_e32 v63, v63, v69
	v_fmac_f32_e32 v26, 0x3f62ad3f, v3
	v_add_f32_e32 v2, v6, v2
	v_fma_f32 v3, v4, s7, -v5
	v_sub_f32_e32 v6, v12, v14
	v_add_f32_e32 v75, v78, v75
	v_add_f32_e32 v74, v74, v76
	;; [unrolled: 1-line block ×4, first 2 shown]
	v_mov_b32_e32 v28, v5
	v_add_f32_e32 v1, v3, v1
	v_add_f32_e32 v3, v13, v11
	v_sub_f32_e32 v5, v11, v13
	v_mul_f32_e32 v11, 0xbe750f2a, v6
	v_add_f32_e32 v71, v71, v75
	v_add_f32_e32 v70, v70, v74
	v_fmac_f32_e32 v29, 0x3f62ad3f, v4
	v_fmac_f32_e32 v28, 0xbeb58ec6, v4
	v_add_f32_e32 v4, v14, v12
	v_fma_f32 v12, v3, s17, -v11
	v_add_f32_e32 v67, v67, v71
	v_add_f32_e32 v64, v64, v70
	;; [unrolled: 1-line block ×3, first 2 shown]
	v_mul_f32_e32 v8, 0xbe750f2a, v5
	v_fmac_f32_e32 v11, 0xbf788fa5, v3
	v_add_f32_e32 v63, v28, v64
	v_add_f32_e32 v28, v11, v7
	v_fma_f32 v7, v4, s17, -v8
	v_add_f32_e32 v33, v29, v67
	v_add_f32_e32 v29, v7, v9
	v_mul_f32_e32 v7, 0x3eedf032, v6
	v_mov_b32_e32 v12, v8
	v_fma_f32 v8, v3, s6, -v7
	v_add_f32_e32 v73, v8, v16
	v_mul_f32_e32 v8, 0x3eedf032, v5
	v_fmac_f32_e32 v7, 0x3f62ad3f, v3
	v_add_f32_e32 v67, v7, v10
	v_fma_f32 v7, v4, s6, -v8
	v_add_f32_e32 v68, v7, v17
	v_mul_f32_e32 v7, 0xbf29c268, v6
	v_mov_b32_e32 v9, v8
	v_fma_f32 v8, v3, s16, -v7
	v_add_f32_e32 v77, v8, v20
	v_mul_f32_e32 v8, 0xbf29c268, v5
	v_fmac_f32_e32 v7, 0xbf3f9e67, v3
	v_add_f32_e32 v69, v7, v19
	v_fma_f32 v7, v4, s16, -v8
	v_fmac_f32_e32 v9, 0x3f62ad3f, v4
	v_add_f32_e32 v70, v7, v23
	v_mul_f32_e32 v7, 0x3f52af12, v6
	v_add_f32_e32 v74, v9, v18
	v_mov_b32_e32 v9, v8
	v_fma_f32 v8, v3, s1, -v7
	v_add_f32_e32 v79, v8, v22
	v_mul_f32_e32 v8, 0x3f52af12, v5
	v_fmac_f32_e32 v7, 0x3f116cb1, v3
	v_add_f32_e32 v75, v7, v21
	v_fma_f32 v7, v4, s1, -v8
	v_fmac_f32_e32 v9, 0xbf3f9e67, v4
	v_add_f32_e32 v76, v7, v25
	v_mul_f32_e32 v7, 0xbf6f5d39, v6
	v_add_f32_e32 v78, v9, v24
	v_mov_b32_e32 v9, v8
	v_fma_f32 v8, v3, s7, -v7
	v_add_f32_e32 v83, v8, v32
	v_mul_f32_e32 v8, 0xbf6f5d39, v5
	v_fmac_f32_e32 v7, 0xbeb58ec6, v3
	v_add_f32_e32 v81, v7, v26
	v_fma_f32 v7, v4, s7, -v8
	v_mul_f32_e32 v6, 0x3f7e222b, v6
	v_fmac_f32_e32 v9, 0x3f116cb1, v4
	v_add_f32_e32 v82, v7, v27
	v_fma_f32 v7, v3, s0, -v6
	v_mul_f32_e32 v5, 0x3f7e222b, v5
	v_fmac_f32_e32 v6, 0x3df6dbef, v3
	v_add_f32_e32 v80, v9, v30
	v_mov_b32_e32 v9, v8
	v_add_f32_e32 v85, v7, v31
	v_mov_b32_e32 v7, v5
	v_add_f32_e32 v87, v6, v2
	v_fma_f32 v2, v4, s0, -v5
	v_fmac_f32_e32 v12, 0xbf788fa5, v4
	v_fmac_f32_e32 v9, 0xbeb58ec6, v4
	;; [unrolled: 1-line block ×3, first 2 shown]
	v_add_f32_e32 v88, v2, v1
	v_mul_u32_u24_e32 v1, 13, v92
	v_add_f32_e32 v72, v12, v15
	v_add_f32_e32 v84, v9, v33
	;; [unrolled: 1-line block ×3, first 2 shown]
	v_add_lshl_u32 v95, v0, v1, 3
	v_cmp_gt_u32_e32 vcc, 13, v92
	s_waitcnt lgkmcnt(0)
	; wave barrier
	ds_write2_b64 v95, v[65:66], v[71:72] offset1:1
	ds_write2_b64 v95, v[73:74], v[77:78] offset0:2 offset1:3
	ds_write2_b64 v95, v[79:80], v[83:84] offset0:4 offset1:5
	;; [unrolled: 1-line block ×5, first 2 shown]
	ds_write_b64 v95, v[28:29] offset:96
	s_waitcnt lgkmcnt(0)
	; wave barrier
	s_waitcnt lgkmcnt(0)
                                        ; implicit-def: $vgpr32
	s_and_saveexec_b64 s[0:1], vcc
	s_cbranch_execz .LBB0_3
; %bb.2:
	ds_read2_b64 v[0:3], v91 offset0:13 offset1:26
	ds_read2_b64 v[4:7], v91 offset0:39 offset1:52
	;; [unrolled: 1-line block ×7, first 2 shown]
	ds_read_b64 v[65:66], v93
	ds_read_b64 v[89:90], v91 offset:1560
	s_waitcnt lgkmcnt(4)
	v_mov_b32_e32 v67, v26
	v_mov_b32_e32 v68, v27
	s_waitcnt lgkmcnt(3)
	v_mov_b32_e32 v69, v18
	v_mov_b32_e32 v70, v19
	;; [unrolled: 1-line block ×20, first 2 shown]
.LBB0_3:
	s_or_b64 exec, exec, s[0:1]
	v_add_u32_e32 v0, -13, v92
	v_cndmask_b32_e32 v0, v0, v92, vcc
	v_mul_hi_i32_i24_e32 v1, 0x78, v0
	v_mul_i32_i24_e32 v0, 0x78, v0
	v_mov_b32_e32 v2, s15
	v_add_co_u32_e64 v96, s[0:1], s14, v0
	v_addc_co_u32_e64 v97, s[0:1], v2, v1, s[0:1]
	global_load_dwordx4 v[8:11], v[96:97], off
	global_load_dwordx4 v[4:7], v[96:97], off offset:16
	global_load_dwordx4 v[12:15], v[96:97], off offset:32
	;; [unrolled: 1-line block ×6, first 2 shown]
	global_load_dwordx2 v[63:64], v[96:97], off offset:112
	s_waitcnt vmcnt(7)
	v_mul_f32_e32 v99, v73, v11
	v_mul_f32_e32 v97, v71, v9
	;; [unrolled: 1-line block ×3, first 2 shown]
	s_waitcnt vmcnt(6)
	v_mul_f32_e32 v100, v78, v5
	s_waitcnt vmcnt(3)
	v_mul_f32_e32 v115, v69, v23
	v_mul_f32_e32 v102, v80, v7
	;; [unrolled: 1-line block ×7, first 2 shown]
	s_waitcnt vmcnt(2)
	v_mul_f32_e32 v116, v68, v17
	v_mul_f32_e32 v118, v29, v19
	;; [unrolled: 1-line block ×3, first 2 shown]
	s_waitcnt vmcnt(1) lgkmcnt(2)
	v_mul_f32_e32 v120, v31, v25
	v_mul_f32_e32 v122, v33, v27
	v_fmac_f32_e32 v99, v74, v10
	v_fmac_f32_e32 v115, v70, v22
	v_mul_f32_e32 v96, v72, v9
	v_mul_f32_e32 v101, v77, v5
	;; [unrolled: 1-line block ×12, first 2 shown]
	s_waitcnt vmcnt(0) lgkmcnt(0)
	v_mul_f32_e32 v124, v90, v64
	v_mul_f32_e32 v125, v89, v64
	v_fmac_f32_e32 v97, v72, v8
	v_fma_f32 v72, v73, v10, -v98
	v_fma_f32 v73, v77, v4, -v100
	;; [unrolled: 1-line block ×3, first 2 shown]
	v_fmac_f32_e32 v103, v80, v6
	v_fma_f32 v79, v85, v14, -v106
	v_fma_f32 v74, v81, v2, -v110
	v_fmac_f32_e32 v111, v82, v2
	v_fma_f32 v69, v69, v22, -v114
	v_fma_f32 v67, v67, v16, -v116
	;; [unrolled: 1-line block ×3, first 2 shown]
	v_fmac_f32_e32 v119, v29, v18
	v_fma_f32 v29, v30, v24, -v120
	v_fma_f32 v30, v32, v26, -v122
	v_sub_f32_e32 v85, v99, v115
	v_fma_f32 v71, v71, v8, -v96
	v_fmac_f32_e32 v101, v78, v4
	v_fma_f32 v78, v83, v12, -v104
	v_fmac_f32_e32 v105, v84, v12
	v_fmac_f32_e32 v107, v86, v14
	v_fma_f32 v80, v87, v0, -v108
	v_fmac_f32_e32 v109, v88, v0
	v_fma_f32 v75, v75, v20, -v112
	v_fmac_f32_e32 v113, v76, v20
	v_fmac_f32_e32 v117, v68, v16
	;; [unrolled: 1-line block ×4, first 2 shown]
	v_fma_f32 v31, v89, v63, -v124
	v_fmac_f32_e32 v125, v90, v63
	v_sub_f32_e32 v32, v65, v74
	v_sub_f32_e32 v33, v66, v111
	;; [unrolled: 1-line block ×5, first 2 shown]
	v_fma_f32 v76, v99, 2.0, -v85
	v_sub_f32_e32 v30, v79, v30
	v_sub_f32_e32 v99, v73, v67
	v_fma_f32 v68, v65, 2.0, -v32
	v_fma_f32 v74, v66, 2.0, -v33
	v_fma_f32 v65, v77, 2.0, -v28
	v_fma_f32 v66, v103, 2.0, -v83
	v_fma_f32 v70, v72, 2.0, -v69
	v_sub_f32_e32 v72, v107, v123
	v_fma_f32 v79, v79, 2.0, -v30
	v_sub_f32_e32 v87, v71, v75
	v_sub_f32_e32 v90, v97, v113
	;; [unrolled: 1-line block ×5, first 2 shown]
	v_fma_f32 v84, v73, 2.0, -v99
	v_sub_f32_e32 v31, v80, v31
	v_sub_f32_e32 v73, v109, v125
	;; [unrolled: 1-line block ×3, first 2 shown]
	v_add_f32_e32 v83, v33, v28
	v_add_f32_e32 v30, v85, v30
	v_fma_f32 v81, v71, 2.0, -v87
	v_fma_f32 v78, v78, 2.0, -v29
	;; [unrolled: 1-line block ×4, first 2 shown]
	v_sub_f32_e32 v71, v74, v66
	v_fma_f32 v32, v32, 2.0, -v77
	v_fma_f32 v33, v33, 2.0, -v83
	v_sub_f32_e32 v28, v69, v72
	v_fma_f32 v66, v85, 2.0, -v30
	v_sub_f32_e32 v85, v87, v89
	v_add_f32_e32 v89, v90, v29
	v_sub_f32_e32 v29, v99, v73
	v_add_f32_e32 v31, v102, v31
	v_fma_f32 v86, v107, 2.0, -v72
	v_fma_f32 v82, v101, 2.0, -v102
	;; [unrolled: 1-line block ×3, first 2 shown]
	v_sub_f32_e32 v67, v68, v65
	v_fma_f32 v65, v69, 2.0, -v28
	v_fma_f32 v69, v87, 2.0, -v85
	;; [unrolled: 1-line block ×3, first 2 shown]
	v_sub_f32_e32 v100, v84, v80
	v_fma_f32 v101, v99, 2.0, -v29
	v_fma_f32 v103, v102, 2.0, -v31
	v_mov_b32_e32 v73, v32
	v_mov_b32_e32 v80, v33
	;; [unrolled: 1-line block ×4, first 2 shown]
	v_fma_f32 v75, v97, 2.0, -v90
	v_sub_f32_e32 v88, v70, v79
	v_sub_f32_e32 v97, v76, v86
	v_fmac_f32_e32 v73, 0xbf3504f3, v65
	v_fmac_f32_e32 v80, 0xbf3504f3, v66
	;; [unrolled: 1-line block ×4, first 2 shown]
	v_mov_b32_e32 v87, v69
	v_mov_b32_e32 v90, v72
	;; [unrolled: 1-line block ×4, first 2 shown]
	v_sub_f32_e32 v78, v81, v78
	v_sub_f32_e32 v79, v75, v96
	;; [unrolled: 1-line block ×3, first 2 shown]
	v_fmac_f32_e32 v73, 0xbf3504f3, v66
	v_fmac_f32_e32 v80, 0x3f3504f3, v65
	v_sub_f32_e32 v86, v67, v97
	v_add_f32_e32 v96, v71, v88
	v_fmac_f32_e32 v99, 0xbf3504f3, v30
	v_fmac_f32_e32 v102, 0x3f3504f3, v28
	;; [unrolled: 1-line block ×8, first 2 shown]
	v_sub_f32_e32 v101, v78, v98
	v_add_f32_e32 v103, v79, v100
	v_fmac_f32_e32 v104, 0xbf3504f3, v31
	v_fmac_f32_e32 v105, 0x3f3504f3, v29
	v_mov_b32_e32 v28, v73
	v_mov_b32_e32 v29, v80
	;; [unrolled: 1-line block ×6, first 2 shown]
	v_fmac_f32_e32 v28, 0x3ec3ef15, v87
	v_fmac_f32_e32 v29, 0x3ec3ef15, v90
	;; [unrolled: 1-line block ×12, first 2 shown]
	s_and_saveexec_b64 s[0:1], vcc
	s_cbranch_execz .LBB0_5
; %bb.4:
	v_fma_f32 v116, v68, 2.0, -v67
	v_fma_f32 v68, v70, 2.0, -v88
	v_sub_f32_e32 v88, v116, v68
	v_fma_f32 v117, v75, 2.0, -v79
	v_fma_f32 v68, v82, 2.0, -v98
	;; [unrolled: 1-line block ×4, first 2 shown]
	v_sub_f32_e32 v98, v117, v68
	v_fma_f32 v68, v83, 2.0, -v102
	v_sub_f32_e32 v97, v114, v74
	v_fma_f32 v115, v81, 2.0, -v78
	v_fma_f32 v74, v84, 2.0, -v100
	;; [unrolled: 1-line block ×3, first 2 shown]
	v_mov_b32_e32 v82, v68
	v_sub_f32_e32 v100, v115, v74
	v_fmac_f32_e32 v82, 0xbec3ef15, v70
	v_fma_f32 v74, v85, 2.0, -v104
	v_fmac_f32_e32 v82, 0x3f6c835e, v74
	v_fma_f32 v84, v68, 2.0, -v82
	v_fma_f32 v68, v77, 2.0, -v99
	v_mov_b32_e32 v81, v68
	v_fmac_f32_e32 v81, 0xbec3ef15, v74
	v_fmac_f32_e32 v81, 0xbf6c835e, v70
	v_fma_f32 v70, v71, 2.0, -v96
	v_fma_f32 v83, v68, 2.0, -v81
	;; [unrolled: 1-line block ×3, first 2 shown]
	v_mov_b32_e32 v68, v70
	v_fmac_f32_e32 v68, 0xbf3504f3, v74
	v_fma_f32 v77, v78, 2.0, -v101
	v_fmac_f32_e32 v68, 0x3f3504f3, v77
	v_fma_f32 v71, v70, 2.0, -v68
	v_fma_f32 v70, v67, 2.0, -v86
	v_mov_b32_e32 v67, v70
	v_fmac_f32_e32 v67, 0xbf3504f3, v77
	v_fma_f32 v110, v73, 2.0, -v28
	v_fmac_f32_e32 v67, 0xbf3504f3, v74
	v_fma_f32 v74, v33, 2.0, -v80
	v_fma_f32 v73, v32, 2.0, -v73
	v_fma_f32 v72, v72, 2.0, -v90
	v_mov_b32_e32 v33, v74
	v_fma_f32 v69, v69, 2.0, -v87
	v_mov_b32_e32 v32, v73
	v_fmac_f32_e32 v33, 0xbf6c835e, v72
	v_fmac_f32_e32 v32, 0xbf6c835e, v69
	v_fmac_f32_e32 v33, 0x3ec3ef15, v69
	v_fmac_f32_e32 v32, 0xbec3ef15, v72
	v_fma_f32 v69, v114, 2.0, -v97
	v_fma_f32 v72, v117, 2.0, -v98
	v_sub_f32_e32 v78, v69, v72
	v_fma_f32 v111, v80, 2.0, -v29
	v_fma_f32 v80, v69, 2.0, -v78
	;; [unrolled: 1-line block ×4, first 2 shown]
	v_sub_f32_e32 v77, v69, v72
	v_add_f32_e32 v76, v97, v100
	v_sub_f32_e32 v75, v88, v98
	v_fma_f32 v79, v69, 2.0, -v77
	v_fma_f32 v107, v102, 2.0, -v66
	;; [unrolled: 1-line block ×10, first 2 shown]
	ds_write_b64 v93, v[79:80]
	ds_write2_b64 v91, v[73:74], v[70:71] offset0:13 offset1:26
	ds_write2_b64 v91, v[83:84], v[112:113] offset0:39 offset1:52
	;; [unrolled: 1-line block ×7, first 2 shown]
	ds_write_b64 v91, v[65:66] offset:1560
.LBB0_5:
	s_or_b64 exec, exec, s[0:1]
	s_waitcnt lgkmcnt(0)
	; wave barrier
	s_waitcnt lgkmcnt(0)
	global_load_dwordx2 v[32:33], v[34:35], off offset:1664
	s_add_u32 s0, s12, 0x680
	s_addc_u32 s1, s13, 0
	global_load_dwordx2 v[87:88], v94, s[0:1] offset:128
	global_load_dwordx2 v[89:90], v94, s[0:1] offset:256
	;; [unrolled: 1-line block ×12, first 2 shown]
	ds_read_b64 v[34:35], v93
	s_mov_b32 s4, 0x3f62ad3f
	s_mov_b32 s1, 0x3f116cb1
	;; [unrolled: 1-line block ×6, first 2 shown]
	s_waitcnt vmcnt(12) lgkmcnt(0)
	v_mul_f32_e32 v67, v35, v33
	v_mul_f32_e32 v68, v34, v33
	v_fma_f32 v67, v34, v32, -v67
	v_fmac_f32_e32 v68, v35, v32
	ds_write_b64 v93, v[67:68]
	ds_read2_b64 v[32:35], v91 offset0:16 offset1:32
	ds_read2_b64 v[67:70], v91 offset0:48 offset1:64
	;; [unrolled: 1-line block ×6, first 2 shown]
	s_waitcnt vmcnt(11) lgkmcnt(5)
	v_mul_f32_e32 v94, v33, v88
	v_mul_f32_e32 v116, v32, v88
	s_waitcnt vmcnt(10)
	v_mul_f32_e32 v117, v35, v90
	v_mul_f32_e32 v88, v34, v90
	s_waitcnt vmcnt(9) lgkmcnt(4)
	v_mul_f32_e32 v118, v68, v97
	v_mul_f32_e32 v90, v67, v97
	s_waitcnt vmcnt(8)
	v_mul_f32_e32 v119, v70, v99
	v_mul_f32_e32 v97, v69, v99
	;; [unrolled: 6-line block ×6, first 2 shown]
	v_fma_f32 v115, v32, v87, -v94
	v_fmac_f32_e32 v116, v33, v87
	v_fma_f32 v87, v34, v89, -v117
	v_fmac_f32_e32 v88, v35, v89
	;; [unrolled: 2-line block ×12, first 2 shown]
	ds_write2_b64 v91, v[115:116], v[87:88] offset0:16 offset1:32
	ds_write2_b64 v91, v[89:90], v[96:97] offset0:48 offset1:64
	;; [unrolled: 1-line block ×6, first 2 shown]
	s_waitcnt lgkmcnt(0)
	; wave barrier
	s_waitcnt lgkmcnt(0)
	ds_read_b64 v[89:90], v93
	ds_read2_b64 v[32:35], v91 offset0:16 offset1:32
	ds_read2_b64 v[69:72], v91 offset0:48 offset1:64
	;; [unrolled: 1-line block ×6, first 2 shown]
	s_waitcnt lgkmcnt(5)
	v_add_f32_e32 v67, v89, v32
	v_add_f32_e32 v68, v90, v33
	v_add_f32_e32 v67, v67, v34
	v_add_f32_e32 v68, v68, v35
	s_waitcnt lgkmcnt(4)
	v_add_f32_e32 v67, v67, v69
	v_add_f32_e32 v68, v68, v70
	v_add_f32_e32 v67, v67, v71
	v_add_f32_e32 v68, v68, v72
	;; [unrolled: 5-line block ×4, first 2 shown]
	s_waitcnt lgkmcnt(1)
	v_add_f32_e32 v67, v67, v81
	v_add_f32_e32 v68, v68, v82
	;; [unrolled: 1-line block ×3, first 2 shown]
	s_waitcnt lgkmcnt(0)
	v_add_f32_e32 v96, v88, v33
	v_add_f32_e32 v68, v68, v84
	;; [unrolled: 1-line block ×3, first 2 shown]
	v_sub_f32_e32 v33, v33, v88
	v_mul_f32_e32 v97, 0x3f62ad3f, v96
	v_mul_f32_e32 v101, 0x3f116cb1, v96
	v_mul_f32_e32 v105, 0x3df6dbef, v96
	v_mul_f32_e32 v109, 0xbeb58ec6, v96
	v_mul_f32_e32 v113, 0xbf3f9e67, v96
	v_mul_f32_e32 v96, 0xbf788fa5, v96
	v_add_f32_e32 v68, v68, v86
	v_add_f32_e32 v67, v67, v87
	;; [unrolled: 1-line block ×3, first 2 shown]
	v_sub_f32_e32 v32, v32, v87
	v_mul_f32_e32 v87, 0xbeedf032, v33
	v_mov_b32_e32 v98, v97
	v_mul_f32_e32 v99, 0xbf52af12, v33
	v_mov_b32_e32 v102, v101
	v_mul_f32_e32 v103, 0xbf7e222b, v33
	v_mov_b32_e32 v106, v105
	v_mul_f32_e32 v107, 0xbf6f5d39, v33
	v_mov_b32_e32 v110, v109
	v_mul_f32_e32 v111, 0xbf29c268, v33
	v_mov_b32_e32 v114, v113
	v_mul_f32_e32 v33, 0xbe750f2a, v33
	v_mov_b32_e32 v116, v96
	v_add_f32_e32 v68, v68, v88
	v_mov_b32_e32 v88, v87
	v_fmac_f32_e32 v98, 0x3eedf032, v32
	v_fmac_f32_e32 v97, 0xbeedf032, v32
	v_mov_b32_e32 v100, v99
	v_fmac_f32_e32 v102, 0x3f52af12, v32
	v_fmac_f32_e32 v101, 0xbf52af12, v32
	;; [unrolled: 3-line block ×6, first 2 shown]
	v_fmac_f32_e32 v88, 0x3f62ad3f, v94
	v_add_f32_e32 v98, v90, v98
	v_fma_f32 v87, v94, s4, -v87
	v_add_f32_e32 v97, v90, v97
	v_fmac_f32_e32 v100, 0x3f116cb1, v94
	v_add_f32_e32 v102, v90, v102
	v_fma_f32 v99, v94, s1, -v99
	v_add_f32_e32 v101, v90, v101
	;; [unrolled: 4-line block ×6, first 2 shown]
	v_add_f32_e32 v90, v86, v35
	v_sub_f32_e32 v35, v35, v86
	v_add_f32_e32 v88, v89, v88
	v_add_f32_e32 v87, v89, v87
	;; [unrolled: 1-line block ×13, first 2 shown]
	v_sub_f32_e32 v34, v34, v85
	v_mul_f32_e32 v85, 0xbf52af12, v35
	v_mov_b32_e32 v86, v85
	v_fmac_f32_e32 v86, 0x3f116cb1, v89
	v_add_f32_e32 v86, v86, v88
	v_mul_f32_e32 v88, 0x3f116cb1, v90
	v_mov_b32_e32 v94, v88
	v_fma_f32 v85, v89, s1, -v85
	v_fmac_f32_e32 v88, 0xbf52af12, v34
	v_add_f32_e32 v85, v85, v87
	v_add_f32_e32 v87, v88, v97
	v_mul_f32_e32 v88, 0xbf6f5d39, v35
	v_mov_b32_e32 v96, v88
	v_fma_f32 v88, v89, s5, -v88
	v_fmac_f32_e32 v94, 0x3f52af12, v34
	v_fmac_f32_e32 v96, 0xbeb58ec6, v89
	v_mul_f32_e32 v97, 0xbeb58ec6, v90
	v_add_f32_e32 v88, v88, v99
	v_mul_f32_e32 v99, 0xbe750f2a, v35
	v_add_f32_e32 v94, v94, v98
	v_add_f32_e32 v96, v96, v100
	v_mov_b32_e32 v98, v97
	v_fmac_f32_e32 v97, 0xbf6f5d39, v34
	v_mov_b32_e32 v100, v99
	v_fma_f32 v99, v89, s7, -v99
	v_fmac_f32_e32 v98, 0x3f6f5d39, v34
	v_add_f32_e32 v97, v97, v101
	v_fmac_f32_e32 v100, 0xbf788fa5, v89
	v_mul_f32_e32 v101, 0xbf788fa5, v90
	v_add_f32_e32 v99, v99, v103
	v_mul_f32_e32 v103, 0x3f29c268, v35
	v_add_f32_e32 v98, v98, v102
	v_add_f32_e32 v100, v100, v104
	v_mov_b32_e32 v102, v101
	v_fmac_f32_e32 v101, 0xbe750f2a, v34
	v_mov_b32_e32 v104, v103
	v_fma_f32 v103, v89, s6, -v103
	v_fmac_f32_e32 v102, 0x3e750f2a, v34
	v_add_f32_e32 v101, v101, v105
	v_fmac_f32_e32 v104, 0xbf3f9e67, v89
	v_mul_f32_e32 v105, 0xbf3f9e67, v90
	v_add_f32_e32 v103, v103, v107
	v_mul_f32_e32 v107, 0x3f7e222b, v35
	v_add_f32_e32 v102, v102, v106
	v_add_f32_e32 v104, v104, v108
	v_mov_b32_e32 v106, v105
	v_fmac_f32_e32 v105, 0x3f29c268, v34
	v_mov_b32_e32 v108, v107
	v_fma_f32 v107, v89, s0, -v107
	v_mul_f32_e32 v35, 0x3eedf032, v35
	v_fmac_f32_e32 v106, 0xbf29c268, v34
	v_add_f32_e32 v105, v105, v109
	v_fmac_f32_e32 v108, 0x3df6dbef, v89
	v_mul_f32_e32 v109, 0x3df6dbef, v90
	v_add_f32_e32 v107, v107, v111
	v_mov_b32_e32 v111, v35
	v_mul_f32_e32 v90, 0x3f62ad3f, v90
	v_fma_f32 v35, v89, s4, -v35
	v_add_f32_e32 v106, v106, v110
	v_add_f32_e32 v108, v108, v112
	v_mov_b32_e32 v110, v109
	v_mov_b32_e32 v112, v90
	v_add_f32_e32 v33, v35, v33
	v_add_f32_e32 v35, v84, v70
	v_sub_f32_e32 v70, v70, v84
	v_fmac_f32_e32 v110, 0xbf7e222b, v34
	v_fmac_f32_e32 v109, 0x3f7e222b, v34
	;; [unrolled: 1-line block ×4, first 2 shown]
	v_add_f32_e32 v34, v83, v69
	v_sub_f32_e32 v69, v69, v83
	v_mul_f32_e32 v83, 0xbf7e222b, v70
	v_mov_b32_e32 v84, v83
	v_fmac_f32_e32 v84, 0x3df6dbef, v34
	v_add_f32_e32 v84, v84, v86
	v_mul_f32_e32 v86, 0x3df6dbef, v35
	v_fmac_f32_e32 v111, 0x3f62ad3f, v89
	v_mov_b32_e32 v89, v86
	v_fma_f32 v83, v34, s0, -v83
	v_fmac_f32_e32 v86, 0xbf7e222b, v69
	v_add_f32_e32 v32, v90, v32
	v_fmac_f32_e32 v89, 0x3f7e222b, v69
	v_add_f32_e32 v83, v83, v85
	v_add_f32_e32 v85, v86, v87
	v_mul_f32_e32 v86, 0xbe750f2a, v70
	v_mul_f32_e32 v90, 0xbf788fa5, v35
	v_add_f32_e32 v89, v89, v94
	v_mov_b32_e32 v87, v86
	v_mov_b32_e32 v94, v90
	v_fma_f32 v86, v34, s7, -v86
	v_fmac_f32_e32 v90, 0xbe750f2a, v69
	v_fmac_f32_e32 v87, 0xbf788fa5, v34
	v_add_f32_e32 v86, v86, v88
	v_add_f32_e32 v88, v90, v97
	v_mul_f32_e32 v90, 0x3f6f5d39, v70
	v_add_f32_e32 v87, v87, v96
	v_mov_b32_e32 v96, v90
	v_fma_f32 v90, v34, s5, -v90
	v_fmac_f32_e32 v94, 0x3e750f2a, v69
	v_fmac_f32_e32 v96, 0xbeb58ec6, v34
	v_mul_f32_e32 v97, 0xbeb58ec6, v35
	v_add_f32_e32 v90, v90, v99
	v_mul_f32_e32 v99, 0x3eedf032, v70
	v_add_f32_e32 v94, v94, v98
	v_add_f32_e32 v96, v96, v100
	v_mov_b32_e32 v98, v97
	v_fmac_f32_e32 v97, 0x3f6f5d39, v69
	v_mov_b32_e32 v100, v99
	v_fma_f32 v99, v34, s4, -v99
	v_fmac_f32_e32 v98, 0xbf6f5d39, v69
	v_add_f32_e32 v97, v97, v101
	v_fmac_f32_e32 v100, 0x3f62ad3f, v34
	v_mul_f32_e32 v101, 0x3f62ad3f, v35
	v_add_f32_e32 v99, v99, v103
	v_mul_f32_e32 v103, 0xbf52af12, v70
	v_add_f32_e32 v98, v98, v102
	v_add_f32_e32 v100, v100, v104
	v_mov_b32_e32 v102, v101
	v_fmac_f32_e32 v101, 0x3eedf032, v69
	v_mov_b32_e32 v104, v103
	v_fma_f32 v103, v34, s1, -v103
	v_mul_f32_e32 v70, 0xbf29c268, v70
	v_fmac_f32_e32 v102, 0xbeedf032, v69
	v_add_f32_e32 v101, v101, v105
	v_fmac_f32_e32 v104, 0x3f116cb1, v34
	v_mul_f32_e32 v105, 0x3f116cb1, v35
	v_add_f32_e32 v103, v103, v107
	v_mov_b32_e32 v107, v70
	v_mul_f32_e32 v35, 0xbf3f9e67, v35
	v_add_f32_e32 v102, v102, v106
	v_add_f32_e32 v104, v104, v108
	v_mov_b32_e32 v106, v105
	v_fmac_f32_e32 v107, 0xbf3f9e67, v34
	v_mov_b32_e32 v108, v35
	v_fma_f32 v34, v34, s6, -v70
	v_sub_f32_e32 v70, v72, v82
	v_fmac_f32_e32 v106, 0x3f52af12, v69
	v_fmac_f32_e32 v105, 0xbf52af12, v69
	;; [unrolled: 1-line block ×3, first 2 shown]
	v_add_f32_e32 v33, v34, v33
	v_fmac_f32_e32 v35, 0xbf29c268, v69
	v_add_f32_e32 v34, v81, v71
	v_sub_f32_e32 v69, v71, v81
	v_mul_f32_e32 v71, 0xbf6f5d39, v70
	v_add_f32_e32 v32, v35, v32
	v_add_f32_e32 v35, v82, v72
	v_mov_b32_e32 v72, v71
	v_fma_f32 v71, v34, s5, -v71
	v_fmac_f32_e32 v72, 0xbeb58ec6, v34
	v_mul_f32_e32 v81, 0xbeb58ec6, v35
	v_add_f32_e32 v71, v71, v83
	v_mul_f32_e32 v83, 0x3f29c268, v70
	v_add_f32_e32 v72, v72, v84
	v_mov_b32_e32 v82, v81
	v_fmac_f32_e32 v81, 0xbf6f5d39, v69
	v_mov_b32_e32 v84, v83
	v_add_f32_e32 v81, v81, v85
	v_fmac_f32_e32 v84, 0xbf3f9e67, v34
	v_mul_f32_e32 v85, 0xbf3f9e67, v35
	v_fma_f32 v83, v34, s6, -v83
	v_add_f32_e32 v84, v84, v87
	v_mov_b32_e32 v87, v85
	v_add_f32_e32 v83, v83, v86
	v_fmac_f32_e32 v85, 0x3f29c268, v69
	v_mul_f32_e32 v86, 0x3eedf032, v70
	v_fmac_f32_e32 v82, 0x3f6f5d39, v69
	v_add_f32_e32 v85, v85, v88
	v_mov_b32_e32 v88, v86
	v_fma_f32 v86, v34, s4, -v86
	v_add_f32_e32 v82, v82, v89
	v_fmac_f32_e32 v87, 0xbf29c268, v69
	v_fmac_f32_e32 v88, 0x3f62ad3f, v34
	v_mul_f32_e32 v89, 0x3f62ad3f, v35
	v_add_f32_e32 v86, v86, v90
	v_mul_f32_e32 v90, 0xbf7e222b, v70
	v_add_f32_e32 v87, v87, v94
	v_add_f32_e32 v88, v88, v96
	v_mov_b32_e32 v94, v89
	v_fmac_f32_e32 v89, 0x3eedf032, v69
	v_mov_b32_e32 v96, v90
	v_fma_f32 v90, v34, s0, -v90
	v_fmac_f32_e32 v94, 0xbeedf032, v69
	v_add_f32_e32 v89, v89, v97
	v_fmac_f32_e32 v96, 0x3df6dbef, v34
	v_mul_f32_e32 v97, 0x3df6dbef, v35
	v_add_f32_e32 v90, v90, v99
	v_mul_f32_e32 v99, 0x3e750f2a, v70
	v_add_f32_e32 v94, v94, v98
	v_add_f32_e32 v96, v96, v100
	v_mov_b32_e32 v98, v97
	v_fmac_f32_e32 v97, 0xbf7e222b, v69
	v_mov_b32_e32 v100, v99
	v_fma_f32 v99, v34, s7, -v99
	v_mul_f32_e32 v70, 0x3f52af12, v70
	v_fmac_f32_e32 v98, 0x3f7e222b, v69
	v_add_f32_e32 v97, v97, v101
	v_fmac_f32_e32 v100, 0xbf788fa5, v34
	v_mul_f32_e32 v101, 0xbf788fa5, v35
	v_add_f32_e32 v99, v99, v103
	v_mov_b32_e32 v103, v70
	v_mul_f32_e32 v35, 0x3f116cb1, v35
	v_add_f32_e32 v98, v98, v102
	v_add_f32_e32 v100, v100, v104
	v_mov_b32_e32 v102, v101
	v_fmac_f32_e32 v103, 0x3f116cb1, v34
	v_mov_b32_e32 v104, v35
	v_fma_f32 v34, v34, s1, -v70
	v_sub_f32_e32 v70, v74, v80
	v_fmac_f32_e32 v102, 0xbe750f2a, v69
	v_fmac_f32_e32 v101, 0x3e750f2a, v69
	;; [unrolled: 1-line block ×3, first 2 shown]
	v_add_f32_e32 v33, v34, v33
	v_fmac_f32_e32 v35, 0x3f52af12, v69
	v_add_f32_e32 v34, v79, v73
	v_sub_f32_e32 v69, v73, v79
	v_mul_f32_e32 v73, 0xbf29c268, v70
	v_add_f32_e32 v32, v35, v32
	v_add_f32_e32 v35, v80, v74
	v_mov_b32_e32 v74, v73
	v_fmac_f32_e32 v74, 0xbf3f9e67, v34
	v_add_f32_e32 v72, v74, v72
	v_mul_f32_e32 v74, 0xbf3f9e67, v35
	v_mov_b32_e32 v79, v74
	v_fma_f32 v73, v34, s6, -v73
	v_fmac_f32_e32 v74, 0xbf29c268, v69
	v_add_f32_e32 v71, v73, v71
	v_add_f32_e32 v73, v74, v81
	v_mul_f32_e32 v74, 0x3f7e222b, v70
	v_mov_b32_e32 v80, v74
	v_fma_f32 v74, v34, s0, -v74
	v_fmac_f32_e32 v80, 0x3df6dbef, v34
	v_add_f32_e32 v74, v74, v83
	v_mul_f32_e32 v83, 0xbf52af12, v70
	v_fmac_f32_e32 v79, 0x3f29c268, v69
	v_add_f32_e32 v80, v80, v84
	v_mul_f32_e32 v81, 0x3df6dbef, v35
	v_mov_b32_e32 v84, v83
	v_add_f32_e32 v79, v79, v82
	v_mov_b32_e32 v82, v81
	v_fmac_f32_e32 v81, 0x3f7e222b, v69
	v_fmac_f32_e32 v84, 0x3f116cb1, v34
	;; [unrolled: 1-line block ×3, first 2 shown]
	v_add_f32_e32 v81, v81, v85
	v_add_f32_e32 v85, v84, v88
	v_mul_f32_e32 v84, 0x3f116cb1, v35
	v_fma_f32 v83, v34, s1, -v83
	v_add_f32_e32 v82, v82, v87
	v_mov_b32_e32 v87, v84
	v_add_f32_e32 v86, v83, v86
	v_fmac_f32_e32 v84, 0xbf52af12, v69
	v_mul_f32_e32 v83, 0x3e750f2a, v70
	v_add_f32_e32 v88, v84, v89
	v_mov_b32_e32 v84, v83
	v_fmac_f32_e32 v84, 0xbf788fa5, v34
	v_fmac_f32_e32 v87, 0x3f52af12, v69
	v_add_f32_e32 v89, v84, v96
	v_mul_f32_e32 v84, 0xbf788fa5, v35
	v_fma_f32 v83, v34, s7, -v83
	v_add_f32_e32 v87, v87, v94
	v_mov_b32_e32 v94, v84
	v_add_f32_e32 v90, v83, v90
	v_fmac_f32_e32 v84, 0x3e750f2a, v69
	v_mul_f32_e32 v83, 0x3eedf032, v70
	v_add_f32_e32 v96, v84, v97
	v_mov_b32_e32 v84, v83
	v_add_f32_e32 v109, v109, v113
	v_add_f32_e32 v111, v111, v115
	v_fmac_f32_e32 v84, 0x3f62ad3f, v34
	v_fma_f32 v83, v34, s4, -v83
	v_mul_f32_e32 v70, 0xbf6f5d39, v70
	v_add_f32_e32 v112, v112, v116
	v_add_f32_e32 v105, v105, v109
	;; [unrolled: 1-line block ×3, first 2 shown]
	v_fmac_f32_e32 v94, 0xbe750f2a, v69
	v_add_f32_e32 v97, v84, v100
	v_mul_f32_e32 v84, 0x3f62ad3f, v35
	v_add_f32_e32 v99, v83, v99
	v_mov_b32_e32 v83, v70
	v_add_f32_e32 v108, v108, v112
	v_add_f32_e32 v101, v101, v105
	;; [unrolled: 1-line block ×4, first 2 shown]
	v_mov_b32_e32 v98, v84
	v_fmac_f32_e32 v84, 0x3eedf032, v69
	v_fmac_f32_e32 v83, 0xbeb58ec6, v34
	v_mul_f32_e32 v35, 0xbeb58ec6, v35
	v_add_f32_e32 v104, v104, v108
	v_add_f32_e32 v100, v84, v101
	;; [unrolled: 1-line block ×3, first 2 shown]
	v_mov_b32_e32 v83, v35
	v_sub_f32_e32 v108, v76, v78
	v_add_f32_e32 v110, v110, v114
	v_fmac_f32_e32 v98, 0xbeedf032, v69
	v_fmac_f32_e32 v83, 0x3f6f5d39, v69
	;; [unrolled: 1-line block ×3, first 2 shown]
	v_mul_f32_e32 v69, 0x3eedf032, v108
	v_add_f32_e32 v106, v106, v110
	v_fma_f32 v34, v34, s5, -v70
	v_add_f32_e32 v105, v77, v75
	v_mov_b32_e32 v70, v69
	v_add_f32_e32 v102, v102, v106
	v_add_f32_e32 v103, v34, v33
	;; [unrolled: 1-line block ×3, first 2 shown]
	v_mul_f32_e32 v34, 0xbe750f2a, v108
	v_fmac_f32_e32 v70, 0x3f62ad3f, v105
	v_add_f32_e32 v98, v98, v102
	v_add_f32_e32 v102, v83, v104
	;; [unrolled: 1-line block ×3, first 2 shown]
	v_mov_b32_e32 v32, v34
	v_fma_f32 v34, v105, s7, -v34
	v_add_f32_e32 v83, v70, v80
	v_mul_f32_e32 v70, 0x3f62ad3f, v106
	v_sub_f32_e32 v107, v75, v77
	v_add_f32_e32 v34, v34, v71
	v_mov_b32_e32 v71, v70
	v_fmac_f32_e32 v71, 0xbeedf032, v107
	v_fmac_f32_e32 v32, 0xbf788fa5, v105
	v_add_f32_e32 v84, v71, v82
	v_mul_f32_e32 v71, 0xbf29c268, v108
	v_add_f32_e32 v32, v32, v72
	v_mov_b32_e32 v72, v71
	v_mul_f32_e32 v35, 0xbf788fa5, v106
	v_fmac_f32_e32 v72, 0xbf3f9e67, v105
	v_mov_b32_e32 v33, v35
	v_fmac_f32_e32 v35, 0xbe750f2a, v107
	v_add_f32_e32 v77, v72, v85
	v_mul_f32_e32 v72, 0xbf3f9e67, v106
	v_add_f32_e32 v35, v35, v73
	v_mov_b32_e32 v73, v72
	v_fmac_f32_e32 v73, 0x3f29c268, v107
	v_fma_f32 v69, v105, s4, -v69
	v_fmac_f32_e32 v70, 0x3eedf032, v107
	v_add_f32_e32 v78, v73, v87
	v_fma_f32 v71, v105, s6, -v71
	v_mul_f32_e32 v73, 0x3f52af12, v108
	v_add_f32_e32 v69, v69, v74
	v_add_f32_e32 v70, v70, v81
	;; [unrolled: 1-line block ×3, first 2 shown]
	v_fmac_f32_e32 v72, 0xbf29c268, v107
	v_mov_b32_e32 v71, v73
	v_mul_f32_e32 v74, 0x3f116cb1, v106
	v_fma_f32 v73, v105, s1, -v73
	v_add_f32_e32 v82, v72, v88
	v_mov_b32_e32 v72, v74
	v_add_f32_e32 v75, v73, v90
	v_fmac_f32_e32 v74, 0x3f52af12, v107
	v_mul_f32_e32 v73, 0xbf6f5d39, v108
	v_mul_f32_e32 v85, 0x3f7e222b, v108
	v_add_f32_e32 v76, v74, v96
	v_mov_b32_e32 v74, v73
	v_mov_b32_e32 v86, v85
	v_fmac_f32_e32 v33, 0x3e750f2a, v107
	v_fmac_f32_e32 v74, 0xbeb58ec6, v105
	;; [unrolled: 1-line block ×3, first 2 shown]
	v_add_f32_e32 v33, v33, v79
	v_add_f32_e32 v79, v74, v97
	v_mul_f32_e32 v74, 0xbeb58ec6, v106
	v_add_f32_e32 v87, v86, v101
	v_mul_f32_e32 v86, 0x3df6dbef, v106
	v_mov_b32_e32 v80, v74
	v_mov_b32_e32 v88, v86
	v_fmac_f32_e32 v71, 0x3f116cb1, v105
	v_fmac_f32_e32 v72, 0xbf52af12, v107
	;; [unrolled: 1-line block ×3, first 2 shown]
	v_fma_f32 v73, v105, s5, -v73
	v_fmac_f32_e32 v74, 0xbf6f5d39, v107
	v_fmac_f32_e32 v88, 0xbf7e222b, v107
	v_fma_f32 v85, v105, s0, -v85
	v_fmac_f32_e32 v86, 0x3f7e222b, v107
	v_add_f32_e32 v71, v71, v89
	v_add_f32_e32 v72, v72, v94
	;; [unrolled: 1-line block ×8, first 2 shown]
	s_waitcnt lgkmcnt(0)
	; wave barrier
	ds_write2_b64 v95, v[67:68], v[32:33] offset1:1
	ds_write2_b64 v95, v[83:84], v[77:78] offset0:2 offset1:3
	ds_write2_b64 v95, v[71:72], v[79:80] offset0:4 offset1:5
	;; [unrolled: 1-line block ×5, first 2 shown]
	ds_write_b64 v95, v[34:35] offset:96
	s_waitcnt lgkmcnt(0)
	; wave barrier
	s_waitcnt lgkmcnt(0)
	s_and_saveexec_b64 s[0:1], vcc
	s_cbranch_execz .LBB0_7
; %bb.6:
	ds_read2_b64 v[94:97], v91 offset0:13 offset1:26
	ds_read2_b64 v[98:101], v91 offset0:39 offset1:52
	;; [unrolled: 1-line block ×7, first 2 shown]
	ds_read_b64 v[67:68], v93
	ds_read_b64 v[65:66], v91 offset:1560
	s_waitcnt lgkmcnt(4)
	v_mov_b32_e32 v69, v32
	v_mov_b32_e32 v70, v33
	s_waitcnt lgkmcnt(3)
	v_mov_b32_e32 v81, v85
	v_mov_b32_e32 v82, v86
	;; [unrolled: 1-line block ×18, first 2 shown]
.LBB0_7:
	s_or_b64 exec, exec, s[0:1]
	s_and_saveexec_b64 s[0:1], vcc
	s_cbranch_execz .LBB0_9
; %bb.8:
	v_mul_f32_e32 v94, v15, v88
	v_mul_f32_e32 v15, v15, v87
	v_fmac_f32_e32 v94, v14, v87
	s_waitcnt lgkmcnt(2)
	v_mul_f32_e32 v95, v27, v31
	v_fma_f32 v14, v14, v88, -v15
	v_mul_f32_e32 v15, v27, v30
	v_mul_f32_e32 v27, v1, v86
	;; [unrolled: 1-line block ×3, first 2 shown]
	v_fmac_f32_e32 v27, v0, v85
	v_fma_f32 v85, v0, v86, -v1
	s_waitcnt lgkmcnt(0)
	v_mul_f32_e32 v0, v64, v65
	v_mul_f32_e32 v89, v11, v83
	v_fmac_f32_e32 v95, v26, v30
	v_mul_f32_e32 v11, v11, v84
	v_mul_f32_e32 v30, v64, v66
	v_fma_f32 v0, v63, v66, -v0
	v_fma_f32 v89, v10, v84, -v89
	v_mul_f32_e32 v90, v23, v81
	v_fmac_f32_e32 v11, v10, v83
	v_mul_f32_e32 v10, v23, v82
	v_mul_f32_e32 v23, v5, v77
	v_fmac_f32_e32 v30, v63, v65
	v_sub_f32_e32 v63, v85, v0
	v_mul_f32_e32 v5, v5, v78
	v_mul_f32_e32 v0, v17, v70
	v_fma_f32 v15, v26, v31, -v15
	v_mul_f32_e32 v26, v17, v69
	v_fmac_f32_e32 v5, v4, v77
	v_fmac_f32_e32 v0, v16, v69
	v_fma_f32 v26, v16, v70, -v26
	v_mul_f32_e32 v83, v13, v80
	v_sub_f32_e32 v16, v5, v0
	v_mul_f32_e32 v0, v13, v79
	v_fmac_f32_e32 v83, v12, v79
	v_fma_f32 v12, v12, v80, -v0
	v_mul_f32_e32 v0, v25, v28
	v_fma_f32 v0, v24, v29, -v0
	v_fmac_f32_e32 v10, v22, v81
	v_mul_f32_e32 v81, v9, v32
	v_sub_f32_e32 v13, v12, v0
	v_mul_f32_e32 v9, v9, v33
	v_mul_f32_e32 v0, v21, v76
	v_fma_f32 v90, v22, v82, -v90
	v_mul_f32_e32 v82, v21, v75
	v_fmac_f32_e32 v9, v8, v32
	v_fmac_f32_e32 v0, v20, v75
	v_mul_f32_e32 v97, v3, v73
	v_mul_f32_e32 v98, v7, v72
	;; [unrolled: 1-line block ×3, first 2 shown]
	v_fma_f32 v82, v20, v76, -v82
	v_sub_f32_e32 v20, v9, v0
	v_mul_f32_e32 v0, v7, v71
	v_fma_f32 v97, v2, v74, -v97
	v_fmac_f32_e32 v98, v6, v71
	v_fmac_f32_e32 v99, v18, v34
	v_mul_f32_e32 v84, v25, v29
	v_fma_f32 v6, v6, v72, -v0
	v_mul_f32_e32 v0, v19, v34
	v_sub_f32_e32 v97, v68, v97
	v_sub_f32_e32 v99, v98, v99
	v_fma_f32 v81, v8, v33, -v81
	v_fmac_f32_e32 v84, v24, v28
	v_fma_f32 v0, v18, v35, -v0
	v_sub_f32_e32 v90, v89, v90
	v_sub_f32_e32 v95, v94, v95
	;; [unrolled: 1-line block ×3, first 2 shown]
	v_fma_f32 v23, v4, v78, -v23
	v_sub_f32_e32 v82, v81, v82
	v_sub_f32_e32 v84, v83, v84
	v_sub_f32_e32 v7, v6, v0
	v_mul_f32_e32 v0, v3, v74
	v_sub_f32_e32 v96, v90, v95
	v_mov_b32_e32 v101, v100
	v_sub_f32_e32 v15, v14, v15
	v_sub_f32_e32 v10, v11, v10
	;; [unrolled: 1-line block ×5, first 2 shown]
	v_fmac_f32_e32 v0, v2, v73
	v_fma_f32 v18, v68, 2.0, -v97
	v_fma_f32 v6, v6, 2.0, -v7
	v_fmac_f32_e32 v101, 0x3f3504f3, v96
	v_add_f32_e32 v22, v15, v10
	v_sub_f32_e32 v31, v26, v30
	v_mov_b32_e32 v88, v87
	v_add_f32_e32 v21, v13, v20
	v_sub_f32_e32 v2, v67, v0
	v_sub_f32_e32 v28, v18, v6
	v_fma_f32 v29, v11, 2.0, -v10
	v_fma_f32 v6, v94, 2.0, -v95
	v_fmac_f32_e32 v101, 0xbf3504f3, v22
	v_fmac_f32_e32 v88, 0x3f3504f3, v31
	v_add_f32_e32 v17, v63, v16
	v_mov_b32_e32 v24, v21
	v_add_f32_e32 v19, v7, v2
	v_sub_f32_e32 v32, v29, v6
	v_fma_f32 v6, v12, 2.0, -v13
	v_fma_f32 v13, v5, 2.0, -v16
	v_fma_f32 v5, v27, 2.0, -v30
	v_fmac_f32_e32 v88, 0xbf3504f3, v17
	v_fmac_f32_e32 v24, 0x3f3504f3, v17
	v_mov_b32_e32 v25, v19
	v_sub_f32_e32 v27, v13, v5
	v_fma_f32 v23, v23, 2.0, -v26
	v_fma_f32 v5, v85, 2.0, -v63
	;; [unrolled: 1-line block ×4, first 2 shown]
	v_fmac_f32_e32 v24, 0x3f3504f3, v31
	v_fmac_f32_e32 v25, 0x3f3504f3, v22
	v_sub_f32_e32 v63, v23, v5
	v_fma_f32 v64, v9, 2.0, -v20
	v_fma_f32 v5, v83, 2.0, -v84
	;; [unrolled: 1-line block ×5, first 2 shown]
	v_mov_b32_e32 v18, v17
	v_fmac_f32_e32 v25, 0x3f3504f3, v96
	v_sub_f32_e32 v65, v64, v5
	v_fma_f32 v68, v89, 2.0, -v90
	v_fma_f32 v5, v14, 2.0, -v15
	;; [unrolled: 1-line block ×4, first 2 shown]
	v_fmac_f32_e32 v18, 0xbec3ef15, v22
	v_fma_f32 v21, v21, 2.0, -v24
	v_fma_f32 v34, v81, 2.0, -v82
	v_sub_f32_e32 v14, v68, v5
	v_fma_f32 v15, v67, 2.0, -v2
	v_fma_f32 v5, v98, 2.0, -v99
	;; [unrolled: 1-line block ×3, first 2 shown]
	v_fmac_f32_e32 v18, 0xbf6c835e, v21
	v_fma_f32 v19, v19, 2.0, -v25
	v_mov_b32_e32 v0, v25
	v_sub_f32_e32 v33, v28, v32
	v_sub_f32_e32 v35, v34, v6
	v_sub_f32_e32 v67, v15, v5
	v_fma_f32 v64, v64, 2.0, -v65
	v_fma_f32 v13, v13, 2.0, -v27
	;; [unrolled: 1-line block ×3, first 2 shown]
	v_mov_b32_e32 v17, v19
	v_fmac_f32_e32 v0, 0x3f6c835e, v24
	v_sub_f32_e32 v30, v35, v27
	v_sub_f32_e32 v76, v64, v13
	v_fma_f32 v77, v15, 2.0, -v67
	v_fma_f32 v13, v29, 2.0, -v32
	v_fmac_f32_e32 v17, 0xbec3ef15, v21
	v_fma_f32 v21, v28, 2.0, -v33
	v_fmac_f32_e32 v0, 0x3ec3ef15, v88
	v_add_f32_e32 v66, v63, v65
	v_sub_f32_e32 v29, v77, v13
	v_fma_f32 v13, v23, 2.0, -v63
	v_fmac_f32_e32 v17, 0x3f6c835e, v22
	v_fma_f32 v23, v35, 2.0, -v30
	v_mov_b32_e32 v22, v21
	v_mov_b32_e32 v1, v101
	v_fma_f32 v3, v25, 2.0, -v0
	v_add_f32_e32 v69, v14, v67
	v_fma_f32 v70, v97, 2.0, -v100
	v_mov_b32_e32 v74, v2
	v_fmac_f32_e32 v22, 0xbf3504f3, v23
	v_fma_f32 v25, v65, 2.0, -v66
	v_fmac_f32_e32 v1, 0x3f6c835e, v88
	v_fma_f32 v9, v90, 2.0, -v96
	v_mov_b32_e32 v71, v70
	v_fma_f32 v72, v82, 2.0, -v87
	v_mov_b32_e32 v73, v31
	v_fmac_f32_e32 v74, 0xbf3504f3, v11
	v_fmac_f32_e32 v22, 0xbf3504f3, v25
	v_fma_f32 v27, v67, 2.0, -v69
	v_fmac_f32_e32 v1, 0xbec3ef15, v24
	v_fmac_f32_e32 v71, 0xbf3504f3, v9
	v_mov_b32_e32 v26, v72
	v_fmac_f32_e32 v73, 0xbf3504f3, v16
	v_fmac_f32_e32 v74, 0x3f3504f3, v9
	v_fma_f32 v24, v21, 2.0, -v22
	v_mov_b32_e32 v21, v27
	v_fmac_f32_e32 v71, 0xbf3504f3, v11
	v_fmac_f32_e32 v26, 0xbf3504f3, v12
	;; [unrolled: 1-line block ×3, first 2 shown]
	v_mov_b32_e32 v9, v74
	v_fmac_f32_e32 v21, 0xbf3504f3, v25
	v_mov_b32_e32 v5, v69
	v_fmac_f32_e32 v26, 0xbf3504f3, v16
	;; [unrolled: 2-line block ×3, first 2 shown]
	v_fmac_f32_e32 v21, 0x3f3504f3, v23
	v_fma_f32 v25, v70, 2.0, -v71
	v_mov_b32_e32 v6, v33
	v_fmac_f32_e32 v5, 0x3f3504f3, v66
	v_fmac_f32_e32 v10, 0x3ec3ef15, v26
	;; [unrolled: 1-line block ×3, first 2 shown]
	v_fma_f32 v23, v27, 2.0, -v21
	v_fma_f32 v27, v72, 2.0, -v26
	v_mov_b32_e32 v26, v25
	v_fmac_f32_e32 v6, 0x3f3504f3, v30
	v_fmac_f32_e32 v5, 0x3f3504f3, v30
	;; [unrolled: 1-line block ×3, first 2 shown]
	v_fma_f32 v30, v31, 2.0, -v73
	v_fmac_f32_e32 v26, 0xbec3ef15, v30
	v_fma_f32 v2, v2, 2.0, -v74
	v_fma_f32 v28, v25, 2.0, -v26
	v_mov_b32_e32 v25, v2
	v_fma_f32 v14, v68, 2.0, -v14
	v_fma_f32 v32, v34, 2.0, -v35
	v_fmac_f32_e32 v25, 0xbf6c835e, v30
	v_sub_f32_e32 v68, v75, v14
	v_sub_f32_e32 v34, v32, v13
	v_fmac_f32_e32 v25, 0x3ec3ef15, v27
	v_fma_f32 v27, v2, 2.0, -v25
	v_fma_f32 v2, v75, 2.0, -v68
	;; [unrolled: 1-line block ×3, first 2 shown]
	v_add_f32_e32 v13, v29, v34
	v_sub_f32_e32 v30, v2, v30
	v_fma_f32 v15, v29, 2.0, -v13
	v_fma_f32 v32, v2, 2.0, -v30
	;; [unrolled: 1-line block ×4, first 2 shown]
	v_sub_f32_e32 v29, v2, v29
	v_fmac_f32_e32 v6, 0xbf3504f3, v66
	v_fmac_f32_e32 v10, 0xbf6c835e, v73
	v_sub_f32_e32 v14, v68, v76
	v_fma_f32 v31, v2, 2.0, -v29
	v_fma_f32 v4, v101, 2.0, -v1
	;; [unrolled: 1-line block ×8, first 2 shown]
	ds_write_b64 v93, v[31:32]
	ds_write2_b64 v91, v[27:28], v[23:24] offset0:13 offset1:26
	ds_write2_b64 v91, v[19:20], v[15:16] offset0:39 offset1:52
	;; [unrolled: 1-line block ×7, first 2 shown]
	ds_write_b64 v91, v[0:1] offset:1560
.LBB0_9:
	s_or_b64 exec, exec, s[0:1]
	v_mad_u64_u32 v[4:5], s[0:1], s10, v50, 0
	s_waitcnt lgkmcnt(0)
	; wave barrier
	s_waitcnt lgkmcnt(0)
	ds_read_b64 v[0:1], v93
	v_mov_b32_e32 v2, v5
	v_mad_u64_u32 v[2:3], s[0:1], s11, v50, v[2:3]
	s_mov_b32 s0, 0x13b13b14
	s_waitcnt lgkmcnt(0)
	v_mul_f32_e32 v3, v62, v1
	v_fmac_f32_e32 v3, v61, v0
	v_mul_f32_e32 v0, v62, v0
	v_fma_f32 v0, v61, v1, -v0
	v_cvt_f64_f32_e32 v[5:6], v3
	v_cvt_f64_f32_e32 v[0:1], v0
	v_mad_u64_u32 v[8:9], s[4:5], s8, v92, 0
	s_mov_b32 s1, 0x3f73b13b
	v_mul_f64 v[6:7], v[5:6], s[0:1]
	v_mul_f64 v[10:11], v[0:1], s[0:1]
	v_mov_b32_e32 v0, v9
	v_mov_b32_e32 v5, v2
	v_mad_u64_u32 v[12:13], s[4:5], s9, v92, v[0:1]
	ds_read2_b64 v[0:3], v91 offset0:16 offset1:32
	v_lshlrev_b64 v[4:5], 3, v[4:5]
	v_cvt_f32_f64_e32 v6, v[6:7]
	v_cvt_f32_f64_e32 v7, v[10:11]
	v_mov_b32_e32 v9, v12
	s_waitcnt lgkmcnt(0)
	v_mul_f32_e32 v10, v60, v1
	v_fmac_f32_e32 v10, v59, v0
	v_mul_f32_e32 v0, v60, v0
	v_fma_f32 v0, v59, v1, -v0
	v_cvt_f64_f32_e32 v[10:11], v10
	v_cvt_f64_f32_e32 v[0:1], v0
	v_mov_b32_e32 v12, s3
	v_add_co_u32_e32 v13, vcc, s2, v4
	v_addc_co_u32_e32 v12, vcc, v12, v5, vcc
	v_mul_f64 v[4:5], v[10:11], s[0:1]
	v_mul_f64 v[0:1], v[0:1], s[0:1]
	v_lshlrev_b64 v[8:9], 3, v[8:9]
	s_lshl_b64 s[2:3], s[8:9], 7
	v_add_co_u32_e32 v8, vcc, v13, v8
	v_addc_co_u32_e32 v9, vcc, v12, v9, vcc
	v_cvt_f32_f64_e32 v4, v[4:5]
	v_cvt_f32_f64_e32 v5, v[0:1]
	v_mul_f32_e32 v0, v58, v3
	v_fmac_f32_e32 v0, v57, v2
	v_cvt_f64_f32_e32 v[0:1], v0
	v_mul_f32_e32 v2, v58, v2
	v_fma_f32 v2, v57, v3, -v2
	v_cvt_f64_f32_e32 v[2:3], v2
	global_store_dwordx2 v[8:9], v[6:7], off
	v_mul_f64 v[6:7], v[0:1], s[0:1]
	v_mov_b32_e32 v12, s3
	v_mul_f64 v[10:11], v[2:3], s[0:1]
	ds_read2_b64 v[0:3], v91 offset0:48 offset1:64
	v_add_co_u32_e32 v8, vcc, s2, v8
	v_addc_co_u32_e32 v9, vcc, v9, v12, vcc
	global_store_dwordx2 v[8:9], v[4:5], off
	v_cvt_f32_f64_e32 v4, v[6:7]
	s_waitcnt lgkmcnt(0)
	v_mul_f32_e32 v6, v54, v1
	v_fmac_f32_e32 v6, v53, v0
	v_mul_f32_e32 v0, v54, v0
	v_cvt_f32_f64_e32 v5, v[10:11]
	v_cvt_f64_f32_e32 v[6:7], v6
	v_fma_f32 v0, v53, v1, -v0
	v_cvt_f64_f32_e32 v[0:1], v0
	v_add_co_u32_e32 v8, vcc, s2, v8
	v_addc_co_u32_e32 v9, vcc, v9, v12, vcc
	global_store_dwordx2 v[8:9], v[4:5], off
	v_mul_f64 v[4:5], v[6:7], s[0:1]
	v_mul_f32_e32 v6, v52, v3
	v_mul_f64 v[0:1], v[0:1], s[0:1]
	v_fmac_f32_e32 v6, v51, v2
	v_cvt_f64_f32_e32 v[6:7], v6
	v_mul_f32_e32 v2, v52, v2
	v_fma_f32 v2, v51, v3, -v2
	v_cvt_f64_f32_e32 v[2:3], v2
	v_mul_f64 v[6:7], v[6:7], s[0:1]
	v_cvt_f32_f64_e32 v4, v[4:5]
	v_cvt_f32_f64_e32 v5, v[0:1]
	v_mul_f64 v[10:11], v[2:3], s[0:1]
	ds_read2_b64 v[0:3], v91 offset0:80 offset1:96
	v_add_co_u32_e32 v8, vcc, s2, v8
	v_addc_co_u32_e32 v9, vcc, v9, v12, vcc
	global_store_dwordx2 v[8:9], v[4:5], off
	v_cvt_f32_f64_e32 v4, v[6:7]
	s_waitcnt lgkmcnt(0)
	v_mul_f32_e32 v6, v56, v1
	v_fmac_f32_e32 v6, v55, v0
	v_mul_f32_e32 v0, v56, v0
	v_cvt_f32_f64_e32 v5, v[10:11]
	v_cvt_f64_f32_e32 v[6:7], v6
	v_fma_f32 v0, v55, v1, -v0
	v_cvt_f64_f32_e32 v[0:1], v0
	v_add_co_u32_e32 v8, vcc, s2, v8
	v_addc_co_u32_e32 v9, vcc, v9, v12, vcc
	global_store_dwordx2 v[8:9], v[4:5], off
	v_mul_f64 v[4:5], v[6:7], s[0:1]
	v_mul_f32_e32 v6, v49, v3
	v_mul_f64 v[0:1], v[0:1], s[0:1]
	v_fmac_f32_e32 v6, v48, v2
	v_cvt_f64_f32_e32 v[6:7], v6
	v_mul_f32_e32 v2, v49, v2
	v_fma_f32 v2, v48, v3, -v2
	v_cvt_f64_f32_e32 v[2:3], v2
	v_mul_f64 v[6:7], v[6:7], s[0:1]
	v_cvt_f32_f64_e32 v4, v[4:5]
	v_cvt_f32_f64_e32 v5, v[0:1]
	;; [unrolled: 28-line block ×4, first 2 shown]
	v_mul_f64 v[10:11], v[2:3], s[0:1]
	ds_read2_b64 v[0:3], v91 offset0:176 offset1:192
	v_add_co_u32_e32 v8, vcc, s2, v8
	v_addc_co_u32_e32 v9, vcc, v9, v12, vcc
	global_store_dwordx2 v[8:9], v[4:5], off
	v_cvt_f32_f64_e32 v4, v[6:7]
	s_waitcnt lgkmcnt(0)
	v_mul_f32_e32 v6, v39, v1
	v_fmac_f32_e32 v6, v38, v0
	v_cvt_f64_f32_e32 v[6:7], v6
	v_mul_f32_e32 v0, v39, v0
	v_fma_f32 v0, v38, v1, -v0
	v_cvt_f64_f32_e32 v[0:1], v0
	v_mul_f64 v[6:7], v[6:7], s[0:1]
	v_cvt_f32_f64_e32 v5, v[10:11]
	v_mul_f32_e32 v10, v37, v3
	v_fmac_f32_e32 v10, v36, v2
	v_mul_f32_e32 v2, v37, v2
	v_fma_f32 v2, v36, v3, -v2
	v_mul_f64 v[0:1], v[0:1], s[0:1]
	v_cvt_f64_f32_e32 v[10:11], v10
	v_cvt_f64_f32_e32 v[2:3], v2
	v_add_co_u32_e32 v8, vcc, s2, v8
	v_addc_co_u32_e32 v9, vcc, v9, v12, vcc
	global_store_dwordx2 v[8:9], v[4:5], off
	v_cvt_f32_f64_e32 v4, v[6:7]
	v_mul_f64 v[6:7], v[10:11], s[0:1]
	v_mul_f64 v[2:3], v[2:3], s[0:1]
	v_cvt_f32_f64_e32 v5, v[0:1]
	v_add_co_u32_e32 v0, vcc, s2, v8
	v_addc_co_u32_e32 v1, vcc, v9, v12, vcc
	global_store_dwordx2 v[0:1], v[4:5], off
	v_cvt_f32_f64_e32 v4, v[6:7]
	v_cvt_f32_f64_e32 v5, v[2:3]
	v_add_co_u32_e32 v0, vcc, s2, v0
	v_addc_co_u32_e32 v1, vcc, v1, v12, vcc
	global_store_dwordx2 v[0:1], v[4:5], off
.LBB0_10:
	s_endpgm
	.section	.rodata,"a",@progbits
	.p2align	6, 0x0
	.amdhsa_kernel bluestein_single_fwd_len208_dim1_sp_op_CI_CI
		.amdhsa_group_segment_fixed_size 6656
		.amdhsa_private_segment_fixed_size 0
		.amdhsa_kernarg_size 104
		.amdhsa_user_sgpr_count 6
		.amdhsa_user_sgpr_private_segment_buffer 1
		.amdhsa_user_sgpr_dispatch_ptr 0
		.amdhsa_user_sgpr_queue_ptr 0
		.amdhsa_user_sgpr_kernarg_segment_ptr 1
		.amdhsa_user_sgpr_dispatch_id 0
		.amdhsa_user_sgpr_flat_scratch_init 0
		.amdhsa_user_sgpr_private_segment_size 0
		.amdhsa_uses_dynamic_stack 0
		.amdhsa_system_sgpr_private_segment_wavefront_offset 0
		.amdhsa_system_sgpr_workgroup_id_x 1
		.amdhsa_system_sgpr_workgroup_id_y 0
		.amdhsa_system_sgpr_workgroup_id_z 0
		.amdhsa_system_sgpr_workgroup_info 0
		.amdhsa_system_vgpr_workitem_id 0
		.amdhsa_next_free_vgpr 128
		.amdhsa_next_free_sgpr 20
		.amdhsa_reserve_vcc 1
		.amdhsa_reserve_flat_scratch 0
		.amdhsa_float_round_mode_32 0
		.amdhsa_float_round_mode_16_64 0
		.amdhsa_float_denorm_mode_32 3
		.amdhsa_float_denorm_mode_16_64 3
		.amdhsa_dx10_clamp 1
		.amdhsa_ieee_mode 1
		.amdhsa_fp16_overflow 0
		.amdhsa_exception_fp_ieee_invalid_op 0
		.amdhsa_exception_fp_denorm_src 0
		.amdhsa_exception_fp_ieee_div_zero 0
		.amdhsa_exception_fp_ieee_overflow 0
		.amdhsa_exception_fp_ieee_underflow 0
		.amdhsa_exception_fp_ieee_inexact 0
		.amdhsa_exception_int_div_zero 0
	.end_amdhsa_kernel
	.text
.Lfunc_end0:
	.size	bluestein_single_fwd_len208_dim1_sp_op_CI_CI, .Lfunc_end0-bluestein_single_fwd_len208_dim1_sp_op_CI_CI
                                        ; -- End function
	.section	.AMDGPU.csdata,"",@progbits
; Kernel info:
; codeLenInByte = 11808
; NumSgprs: 24
; NumVgprs: 128
; ScratchSize: 0
; MemoryBound: 0
; FloatMode: 240
; IeeeMode: 1
; LDSByteSize: 6656 bytes/workgroup (compile time only)
; SGPRBlocks: 2
; VGPRBlocks: 31
; NumSGPRsForWavesPerEU: 24
; NumVGPRsForWavesPerEU: 128
; Occupancy: 2
; WaveLimiterHint : 1
; COMPUTE_PGM_RSRC2:SCRATCH_EN: 0
; COMPUTE_PGM_RSRC2:USER_SGPR: 6
; COMPUTE_PGM_RSRC2:TRAP_HANDLER: 0
; COMPUTE_PGM_RSRC2:TGID_X_EN: 1
; COMPUTE_PGM_RSRC2:TGID_Y_EN: 0
; COMPUTE_PGM_RSRC2:TGID_Z_EN: 0
; COMPUTE_PGM_RSRC2:TIDIG_COMP_CNT: 0
	.type	__hip_cuid_facc8d0319318630,@object ; @__hip_cuid_facc8d0319318630
	.section	.bss,"aw",@nobits
	.globl	__hip_cuid_facc8d0319318630
__hip_cuid_facc8d0319318630:
	.byte	0                               ; 0x0
	.size	__hip_cuid_facc8d0319318630, 1

	.ident	"AMD clang version 19.0.0git (https://github.com/RadeonOpenCompute/llvm-project roc-6.4.0 25133 c7fe45cf4b819c5991fe208aaa96edf142730f1d)"
	.section	".note.GNU-stack","",@progbits
	.addrsig
	.addrsig_sym __hip_cuid_facc8d0319318630
	.amdgpu_metadata
---
amdhsa.kernels:
  - .args:
      - .actual_access:  read_only
        .address_space:  global
        .offset:         0
        .size:           8
        .value_kind:     global_buffer
      - .actual_access:  read_only
        .address_space:  global
        .offset:         8
        .size:           8
        .value_kind:     global_buffer
      - .actual_access:  read_only
        .address_space:  global
        .offset:         16
        .size:           8
        .value_kind:     global_buffer
      - .actual_access:  read_only
        .address_space:  global
        .offset:         24
        .size:           8
        .value_kind:     global_buffer
      - .actual_access:  read_only
        .address_space:  global
        .offset:         32
        .size:           8
        .value_kind:     global_buffer
      - .offset:         40
        .size:           8
        .value_kind:     by_value
      - .address_space:  global
        .offset:         48
        .size:           8
        .value_kind:     global_buffer
      - .address_space:  global
        .offset:         56
        .size:           8
        .value_kind:     global_buffer
      - .address_space:  global
        .offset:         64
        .size:           8
        .value_kind:     global_buffer
      - .address_space:  global
        .offset:         72
        .size:           8
        .value_kind:     global_buffer
      - .offset:         80
        .size:           4
        .value_kind:     by_value
      - .address_space:  global
        .offset:         88
        .size:           8
        .value_kind:     global_buffer
      - .address_space:  global
        .offset:         96
        .size:           8
        .value_kind:     global_buffer
    .group_segment_fixed_size: 6656
    .kernarg_segment_align: 8
    .kernarg_segment_size: 104
    .language:       OpenCL C
    .language_version:
      - 2
      - 0
    .max_flat_workgroup_size: 64
    .name:           bluestein_single_fwd_len208_dim1_sp_op_CI_CI
    .private_segment_fixed_size: 0
    .sgpr_count:     24
    .sgpr_spill_count: 0
    .symbol:         bluestein_single_fwd_len208_dim1_sp_op_CI_CI.kd
    .uniform_work_group_size: 1
    .uses_dynamic_stack: false
    .vgpr_count:     128
    .vgpr_spill_count: 0
    .wavefront_size: 64
amdhsa.target:   amdgcn-amd-amdhsa--gfx906
amdhsa.version:
  - 1
  - 2
...

	.end_amdgpu_metadata
